;; amdgpu-corpus repo=triton-lang/triton kind=triton arch=gfx90a opt=O3 lang=triton
	.amdgcn_target "amdgcn-amd-amdhsa--gfx90a"
	.amdhsa_code_object_version 5
	.text
	.globl	indirect_matmul_kernel          ; -- Begin function indirect_matmul_kernel
	.p2align	8
	.type	indirect_matmul_kernel,@function
indirect_matmul_kernel:                 ; @indirect_matmul_kernel
.Lfunc_begin0:
	.cfi_sections .debug_frame
	.cfi_startproc
; %bb.5:
	.file	1 "/root/src/amdgpu-assembly/repos/triton-lang__triton-aot" "indirect_matmul.py"
	.loc	1 8 0 prologue_end              ; indirect_matmul.py:8:0
	s_load_dwordx2 s[6:7], s[4:5], 0x0
	s_load_dwordx8 s[8:15], s[4:5], 0x8
	s_waitcnt lgkmcnt(0)
	s_branch .LBB0_0
	.loc	1 0 0 is_stmt 0                 ; :0:0
.Ltmp0:
	.p2align	8
; %bb.6:
.LBB0_0:
	s_load_dword s9, s[4:5], 0x38
.Ltmp1:
	.loc	1 23 40 is_stmt 1               ; indirect_matmul.py:23:40
	v_and_b32_e32 v53, 0x180, v0
	.loc	1 26 35                         ; indirect_matmul.py:26:35
	v_and_b32_e32 v55, 32, v0
	v_and_b32_e32 v57, 64, v0
	v_mov_b32_e32 v2, 0
	.loc	1 32 25                         ; indirect_matmul.py:32:25
	s_waitcnt lgkmcnt(0)
	s_cmp_lt_i32 s9, 1
	s_cbranch_scc1 .LBB0_3
; %bb.1:                                ; %.lr.ph
	.loc	1 26 35                         ; indirect_matmul.py:26:35
	v_and_b32_e32 v1, 63, v0
	.loc	1 28 17                         ; indirect_matmul.py:28:17
	v_lshlrev_b32_e32 v1, 1, v1
	.loc	1 23 40                         ; indirect_matmul.py:23:40
	v_and_b32_e32 v3, 0x7f, v0
	.loc	1 28 17                         ; indirect_matmul.py:28:17
	v_mov_b32_e32 v4, s11
	v_add_co_u32_e32 v50, vcc, s10, v1
	v_addc_co_u32_e32 v1, vcc, 0, v4, vcc
	.loc	1 29 17                         ; indirect_matmul.py:29:17
	v_lshlrev_b32_e32 v3, 1, v3
	v_add_co_u32_e32 v52, vcc, s14, v3
	.loc	1 23 40                         ; indirect_matmul.py:23:40
	v_lshrrev_b32_e32 v3, 4, v0
	.loc	1 29 17                         ; indirect_matmul.py:29:17
	v_mov_b32_e32 v4, s15
	.loc	1 23 40                         ; indirect_matmul.py:23:40
	v_and_b32_e32 v54, 28, v3
	v_lshlrev_b32_e32 v3, 7, v0
	v_lshlrev_b32_e32 v6, 5, v0
	s_load_dword s13, s[4:5], 0x28
	s_load_dwordx2 s[24:25], s[4:5], 0x30
	.loc	1 29 17                         ; indirect_matmul.py:29:17
	v_addc_co_u32_e32 v51, vcc, 0, v4, vcc
	v_and_b32_e32 v4, 0x3800, v3
	v_and_b32_e32 v6, 0x3400, v6
	;; [unrolled: 1-line block ×3, first 2 shown]
	v_add3_u32 v3, 0, v6, v3
	v_lshlrev_b32_e32 v6, 1, v0
	v_lshlrev_b32_e32 v5, 4, v0
	v_add_u32_e32 v4, 0, v4
	v_and_b32_e32 v7, 62, v6
	v_lshl_add_u32 v8, v55, 4, 0
	v_and_b32_e32 v5, 0xf0, v5
	v_lshl_add_u32 v4, v53, 1, v4
	v_add3_u32 v59, v8, v7, v57
	.loc	1 32 25                         ; indirect_matmul.py:32:25
	v_lshrrev_b32_e32 v7, 5, v53
	s_mov_b32 s26, 0
	v_and_b32_e32 v56, 12, v7
	v_or_b32_e32 v58, 0x1e0, v54
	v_or_b32_e32 v60, 0x1a0, v54
	;; [unrolled: 1-line block ×8, first 2 shown]
	s_mov_b32 s27, 0x5040100
	v_add_u32_e32 v61, v4, v5
	v_add_u32_e32 v63, v3, v5
	;; [unrolled: 1-line block ×3, first 2 shown]
	s_mov_b32 s28, 0x7060302
	v_mov_b32_e32 v3, v2
	v_mov_b32_e32 v4, v2
	;; [unrolled: 1-line block ×15, first 2 shown]
.LBB0_2:                                ; =>This Inner Loop Header: Depth=1
	.loc	1 33 22                         ; indirect_matmul.py:33:22
	s_waitcnt lgkmcnt(0)
	v_mov_b32_e32 v24, s25
	v_add_co_u32_e32 v20, vcc, s24, v58
	v_add_co_u32_e64 v22, s[0:1], s24, v54
	v_add_co_u32_e64 v40, s[2:3], s24, v60
	;; [unrolled: 1-line block ×9, first 2 shown]
	v_addc_co_u32_e32 v21, vcc, 0, v24, vcc
	v_addc_co_u32_e64 v23, vcc, 0, v24, s[0:1]
	v_addc_co_u32_e64 v41, vcc, 0, v24, s[2:3]
	v_addc_co_u32_e64 v43, vcc, 0, v24, s[4:5]
	v_addc_co_u32_e64 v45, vcc, 0, v24, s[10:11]
	v_addc_co_u32_e64 v47, vcc, 0, v24, s[14:15]
	v_addc_co_u32_e64 v49, vcc, 0, v24, s[16:17]
	v_addc_co_u32_e64 v75, vcc, 0, v24, s[18:19]
	v_addc_co_u32_e64 v77, vcc, 0, v24, s[20:21]
	v_addc_co_u32_e64 v19, s[22:23], 0, v24, s[22:23]
	global_load_dword v24, v[22:23], off
	global_load_dword v25, v[44:45], off
	global_load_dword v26, v[22:23], off offset:64
	global_load_dword v27, v[46:47], off
	global_load_dword v28, v[22:23], off offset:128
	;; [unrolled: 2-line block ×7, first 2 shown]
                                        ; kill: killed $vgpr76 killed $vgpr77
                                        ; kill: killed $vgpr40 killed $vgpr41
                                        ; kill: killed $vgpr46 killed $vgpr47
                                        ; kill: killed $vgpr74 killed $vgpr75
                                        ; kill: killed $vgpr42 killed $vgpr43
                                        ; kill: killed $vgpr44 killed $vgpr45
                                        ; kill: killed $vgpr22 killed $vgpr23
                                        ; kill: killed $vgpr48 killed $vgpr49
	s_nop 0
	global_load_dword v22, v[20:21], off
	global_load_dword v23, v[18:19], off
	global_load_dword v39, v[18:19], off offset:16
	global_load_dword v40, v[18:19], off offset:32
	;; [unrolled: 1-line block ×13, first 2 shown]
                                        ; kill: killed $vgpr20 killed $vgpr21
	global_load_dword v21, v[18:19], off offset:224
	global_load_dword v75, v[18:19], off offset:240
	;; [unrolled: 1-line block ×18, first 2 shown]
	.loc	1 32 25                         ; indirect_matmul.py:32:25
	s_addk_i32 s26, 0x80
	s_add_u32 s24, s24, 0x200
	s_addc_u32 s25, s25, 0
	s_cmp_lt_i32 s26, s9
	.loc	1 35 44                         ; indirect_matmul.py:35:44
	s_waitcnt vmcnt(47)
	v_mul_lo_u32 v18, v24, s12
	.loc	1 35 29 is_stmt 0               ; indirect_matmul.py:35:29
	v_ashrrev_i32_e32 v19, 31, v18
	.loc	1 35 44                         ; indirect_matmul.py:35:44
	s_waitcnt vmcnt(46)
	v_mul_lo_u32 v20, v25, s12
	.loc	1 35 29                         ; indirect_matmul.py:35:29
	v_lshlrev_b64 v[18:19], 1, v[18:19]
	v_add_co_u32_e32 v18, vcc, v50, v18
	.loc	1 35 44                         ; indirect_matmul.py:35:44
	s_waitcnt vmcnt(45)
	v_mul_lo_u32 v24, v26, s12
	.loc	1 35 29                         ; indirect_matmul.py:35:29
	v_addc_co_u32_e32 v19, vcc, v1, v19, vcc
	v_ashrrev_i32_e32 v25, 31, v24
	.loc	1 35 44                         ; indirect_matmul.py:35:44
	s_waitcnt vmcnt(44)
	v_mul_lo_u32 v26, v27, s12
	.loc	1 35 29                         ; indirect_matmul.py:35:29
	v_lshlrev_b64 v[24:25], 1, v[24:25]
	v_ashrrev_i32_e32 v27, 31, v26
	.loc	1 35 44                         ; indirect_matmul.py:35:44
	s_waitcnt vmcnt(43)
	v_mul_lo_u32 v28, v28, s12
	.loc	1 35 29                         ; indirect_matmul.py:35:29
	v_lshlrev_b64 v[26:27], 1, v[26:27]
	.loc	1 35 44                         ; indirect_matmul.py:35:44
	s_waitcnt vmcnt(42)
	v_mul_lo_u32 v46, v29, s12
	.loc	1 35 29                         ; indirect_matmul.py:35:29
	v_ashrrev_i32_e32 v29, 31, v28
	v_lshlrev_b64 v[28:29], 1, v[28:29]
	.loc	1 35 44                         ; indirect_matmul.py:35:44
	s_waitcnt vmcnt(41)
	v_mul_lo_u32 v30, v30, s12
	s_waitcnt vmcnt(40)
	v_mul_lo_u32 v48, v31, s12
	.loc	1 35 29                         ; indirect_matmul.py:35:29
	v_ashrrev_i32_e32 v31, 31, v30
	v_lshlrev_b64 v[30:31], 1, v[30:31]
	.loc	1 35 44                         ; indirect_matmul.py:35:44
	s_waitcnt vmcnt(39)
	v_mul_lo_u32 v32, v32, s12
	s_waitcnt vmcnt(38)
	v_mul_lo_u32 v74, v33, s12
	.loc	1 36 44 is_stmt 1               ; indirect_matmul.py:36:44
	s_waitcnt vmcnt(23)
	v_mul_lo_u32 v90, v47, s13
	.loc	1 35 29                         ; indirect_matmul.py:35:29
	v_ashrrev_i32_e32 v47, 31, v46
	v_lshlrev_b64 v[46:47], 1, v[46:47]
	.loc	1 36 44                         ; indirect_matmul.py:36:44
	s_waitcnt vmcnt(22)
	v_mul_lo_u32 v92, v49, s13
	.loc	1 35 29                         ; indirect_matmul.py:35:29
	v_ashrrev_i32_e32 v49, 31, v48
	v_lshlrev_b64 v[48:49], 1, v[48:49]
	.loc	1 36 44                         ; indirect_matmul.py:36:44
	s_waitcnt vmcnt(17)
	v_mul_lo_u32 v102, v21, s13
	.loc	1 35 29                         ; indirect_matmul.py:35:29
	v_ashrrev_i32_e32 v21, 31, v20
	v_lshlrev_b64 v[20:21], 1, v[20:21]
	v_add_co_u32_e32 v20, vcc, v50, v20
	v_addc_co_u32_e32 v21, vcc, v1, v21, vcc
	v_add_co_u32_e32 v24, vcc, v50, v24
	v_addc_co_u32_e32 v25, vcc, v1, v25, vcc
	;; [unrolled: 2-line block ×6, first 2 shown]
	v_ashrrev_i32_e32 v33, 31, v32
	v_add_co_u32_e32 v48, vcc, v50, v48
	v_lshlrev_b64 v[32:33], 1, v[32:33]
	v_addc_co_u32_e32 v49, vcc, v1, v49, vcc
	.loc	1 36 44                         ; indirect_matmul.py:36:44
	s_waitcnt vmcnt(16)
	v_mul_lo_u32 v104, v75, s13
	.loc	1 35 29                         ; indirect_matmul.py:35:29
	v_ashrrev_i32_e32 v75, 31, v74
	v_add_co_u32_e32 v32, vcc, v50, v32
	.loc	1 35 44 is_stmt 0               ; indirect_matmul.py:35:44
	v_mul_lo_u32 v34, v34, s12
	.loc	1 35 29                         ; indirect_matmul.py:35:29
	v_lshlrev_b64 v[74:75], 1, v[74:75]
	v_addc_co_u32_e32 v33, vcc, v1, v33, vcc
	.loc	1 35 44                         ; indirect_matmul.py:35:44
	v_mul_lo_u32 v76, v35, s12
	.loc	1 35 29                         ; indirect_matmul.py:35:29
	v_ashrrev_i32_e32 v35, 31, v34
	v_add_co_u32_e32 v74, vcc, v50, v74
	v_lshlrev_b64 v[34:35], 1, v[34:35]
	v_addc_co_u32_e32 v75, vcc, v1, v75, vcc
	.loc	1 36 44 is_stmt 1               ; indirect_matmul.py:36:44
	s_waitcnt vmcnt(15)
	v_mul_lo_u32 v106, v77, s13
	.loc	1 35 29                         ; indirect_matmul.py:35:29
	v_ashrrev_i32_e32 v77, 31, v76
	v_add_co_u32_e32 v34, vcc, v50, v34
	.loc	1 35 44 is_stmt 0               ; indirect_matmul.py:35:44
	v_mul_lo_u32 v36, v36, s12
	.loc	1 35 29                         ; indirect_matmul.py:35:29
	v_lshlrev_b64 v[76:77], 1, v[76:77]
	v_addc_co_u32_e32 v35, vcc, v1, v35, vcc
	.loc	1 35 44                         ; indirect_matmul.py:35:44
	v_mul_lo_u32 v78, v37, s12
	.loc	1 35 29                         ; indirect_matmul.py:35:29
	v_ashrrev_i32_e32 v37, 31, v36
	v_add_co_u32_e32 v76, vcc, v50, v76
	v_lshlrev_b64 v[36:37], 1, v[36:37]
	v_addc_co_u32_e32 v77, vcc, v1, v77, vcc
	.loc	1 36 44 is_stmt 1               ; indirect_matmul.py:36:44
	s_waitcnt vmcnt(14)
	v_mul_lo_u32 v108, v79, s13
	.loc	1 35 29                         ; indirect_matmul.py:35:29
	v_ashrrev_i32_e32 v79, 31, v78
	v_add_co_u32_e32 v36, vcc, v50, v36
	.loc	1 35 44 is_stmt 0               ; indirect_matmul.py:35:44
	v_mul_lo_u32 v38, v38, s12
	.loc	1 35 29                         ; indirect_matmul.py:35:29
	v_lshlrev_b64 v[78:79], 1, v[78:79]
	v_addc_co_u32_e32 v37, vcc, v1, v37, vcc
	.loc	1 36 44 is_stmt 1               ; indirect_matmul.py:36:44
	v_mul_lo_u32 v82, v39, s13
	.loc	1 35 29                         ; indirect_matmul.py:35:29
	v_ashrrev_i32_e32 v39, 31, v38
	v_add_co_u32_e32 v78, vcc, v50, v78
	.loc	1 35 44 is_stmt 0               ; indirect_matmul.py:35:44
	v_mul_lo_u32 v22, v22, s12
	.loc	1 35 29                         ; indirect_matmul.py:35:29
	v_lshlrev_b64 v[38:39], 1, v[38:39]
	v_addc_co_u32_e32 v79, vcc, v1, v79, vcc
	.loc	1 36 44 is_stmt 1               ; indirect_matmul.py:36:44
	v_mul_lo_u32 v80, v23, s13
	.loc	1 35 29                         ; indirect_matmul.py:35:29
	v_ashrrev_i32_e32 v23, 31, v22
	v_add_co_u32_e32 v38, vcc, v50, v38
	v_lshlrev_b64 v[22:23], 1, v[22:23]
	v_addc_co_u32_e32 v39, vcc, v1, v39, vcc
	.loc	1 36 44                         ; indirect_matmul.py:36:44
	s_waitcnt vmcnt(13)
	v_mul_lo_u32 v110, v81, s13
	.loc	1 36 29 is_stmt 0               ; indirect_matmul.py:36:29
	v_ashrrev_i32_e32 v81, 31, v80
	.loc	1 35 29 is_stmt 1               ; indirect_matmul.py:35:29
	v_add_co_u32_e32 v22, vcc, v50, v22
	.loc	1 36 29                         ; indirect_matmul.py:36:29
	v_lshlrev_b64 v[80:81], 1, v[80:81]
	.loc	1 35 29                         ; indirect_matmul.py:35:29
	v_addc_co_u32_e32 v23, vcc, v1, v23, vcc
	.loc	1 36 44                         ; indirect_matmul.py:36:44
	s_waitcnt vmcnt(12)
	v_mul_lo_u32 v112, v83, s13
	.loc	1 36 29 is_stmt 0               ; indirect_matmul.py:36:29
	v_ashrrev_i32_e32 v83, 31, v82
	v_add_co_u32_e32 v80, vcc, v52, v80
	.loc	1 36 44                         ; indirect_matmul.py:36:44
	v_mul_lo_u32 v40, v40, s13
	.loc	1 36 29                         ; indirect_matmul.py:36:29
	v_lshlrev_b64 v[82:83], 1, v[82:83]
	v_addc_co_u32_e32 v81, vcc, v51, v81, vcc
	.loc	1 36 44                         ; indirect_matmul.py:36:44
	v_mul_lo_u32 v84, v41, s13
	.loc	1 36 29                         ; indirect_matmul.py:36:29
	v_ashrrev_i32_e32 v41, 31, v40
	v_add_co_u32_e32 v82, vcc, v52, v82
	v_lshlrev_b64 v[40:41], 1, v[40:41]
	v_addc_co_u32_e32 v83, vcc, v51, v83, vcc
	.loc	1 36 44                         ; indirect_matmul.py:36:44
	s_waitcnt vmcnt(11)
	v_mul_lo_u32 v114, v85, s13
	.loc	1 36 29                         ; indirect_matmul.py:36:29
	v_ashrrev_i32_e32 v85, 31, v84
	v_add_co_u32_e32 v40, vcc, v52, v40
	.loc	1 36 44                         ; indirect_matmul.py:36:44
	v_mul_lo_u32 v42, v42, s13
	.loc	1 36 29                         ; indirect_matmul.py:36:29
	v_lshlrev_b64 v[84:85], 1, v[84:85]
	v_addc_co_u32_e32 v41, vcc, v51, v41, vcc
	.loc	1 36 44                         ; indirect_matmul.py:36:44
	v_mul_lo_u32 v86, v43, s13
	.loc	1 36 29                         ; indirect_matmul.py:36:29
	v_ashrrev_i32_e32 v43, 31, v42
	v_add_co_u32_e32 v84, vcc, v52, v84
	v_lshlrev_b64 v[42:43], 1, v[42:43]
	v_addc_co_u32_e32 v85, vcc, v51, v85, vcc
	.loc	1 36 44                         ; indirect_matmul.py:36:44
	s_waitcnt vmcnt(10)
	v_mul_lo_u32 v116, v87, s13
	.loc	1 36 29                         ; indirect_matmul.py:36:29
	;; [unrolled: 18-line block ×3, first 2 shown]
	v_ashrrev_i32_e32 v89, 31, v88
	v_add_co_u32_e32 v44, vcc, v52, v44
	v_lshlrev_b64 v[88:89], 1, v[88:89]
	v_addc_co_u32_e32 v45, vcc, v51, v45, vcc
	.loc	1 36 44                         ; indirect_matmul.py:36:44
	s_waitcnt vmcnt(8)
	v_mul_lo_u32 v120, v91, s13
	.loc	1 36 29                         ; indirect_matmul.py:36:29
	v_ashrrev_i32_e32 v91, 31, v90
	v_add_co_u32_e32 v88, vcc, v52, v88
	v_lshlrev_b64 v[90:91], 1, v[90:91]
	v_addc_co_u32_e32 v89, vcc, v51, v89, vcc
	.loc	1 36 44                         ; indirect_matmul.py:36:44
	s_waitcnt vmcnt(7)
	v_mul_lo_u32 v122, v93, s13
	.loc	1 36 29                         ; indirect_matmul.py:36:29
	v_ashrrev_i32_e32 v93, 31, v92
	v_add_co_u32_e32 v90, vcc, v52, v90
	.loc	1 36 44                         ; indirect_matmul.py:36:44
	v_mul_lo_u32 v94, v67, s13
	.loc	1 36 29                         ; indirect_matmul.py:36:29
	v_lshlrev_b64 v[92:93], 1, v[92:93]
	v_addc_co_u32_e32 v91, vcc, v51, v91, vcc
	.loc	1 36 44                         ; indirect_matmul.py:36:44
	s_waitcnt vmcnt(6)
	v_mul_lo_u32 v124, v95, s13
	.loc	1 36 29                         ; indirect_matmul.py:36:29
	v_ashrrev_i32_e32 v95, 31, v94
	v_add_co_u32_e32 v92, vcc, v52, v92
	.loc	1 36 44                         ; indirect_matmul.py:36:44
	v_mul_lo_u32 v96, v69, s13
	.loc	1 36 29                         ; indirect_matmul.py:36:29
	v_lshlrev_b64 v[94:95], 1, v[94:95]
	v_addc_co_u32_e32 v93, vcc, v51, v93, vcc
	.loc	1 36 44                         ; indirect_matmul.py:36:44
	s_waitcnt vmcnt(5)
	v_mul_lo_u32 v126, v97, s13
	.loc	1 36 29                         ; indirect_matmul.py:36:29
	v_ashrrev_i32_e32 v97, 31, v96
	v_add_co_u32_e32 v94, vcc, v52, v94
	.loc	1 36 44                         ; indirect_matmul.py:36:44
	v_mul_lo_u32 v98, v71, s13
	.loc	1 36 29                         ; indirect_matmul.py:36:29
	v_lshlrev_b64 v[96:97], 1, v[96:97]
	v_addc_co_u32_e32 v95, vcc, v51, v95, vcc
	.loc	1 36 44                         ; indirect_matmul.py:36:44
	s_waitcnt vmcnt(4)
	v_mul_lo_u32 v128, v99, s13
	.loc	1 36 29                         ; indirect_matmul.py:36:29
	v_ashrrev_i32_e32 v99, 31, v98
	v_add_co_u32_e32 v96, vcc, v52, v96
	.loc	1 36 44                         ; indirect_matmul.py:36:44
	v_mul_lo_u32 v100, v73, s13
	.loc	1 36 29                         ; indirect_matmul.py:36:29
	v_lshlrev_b64 v[98:99], 1, v[98:99]
	v_addc_co_u32_e32 v97, vcc, v51, v97, vcc
	.loc	1 36 44                         ; indirect_matmul.py:36:44
	s_waitcnt vmcnt(3)
	v_mul_lo_u32 v130, v101, s13
	.loc	1 36 29                         ; indirect_matmul.py:36:29
	v_ashrrev_i32_e32 v101, 31, v100
	v_add_co_u32_e32 v98, vcc, v52, v98
	v_lshlrev_b64 v[100:101], 1, v[100:101]
	v_addc_co_u32_e32 v99, vcc, v51, v99, vcc
	.loc	1 36 44                         ; indirect_matmul.py:36:44
	s_waitcnt vmcnt(2)
	v_mul_lo_u32 v132, v103, s13
	.loc	1 36 29                         ; indirect_matmul.py:36:29
	v_ashrrev_i32_e32 v103, 31, v102
	v_add_co_u32_e32 v100, vcc, v52, v100
	;; [unrolled: 8-line block ×4, first 2 shown]
	v_lshlrev_b64 v[106:107], 1, v[106:107]
	v_addc_co_u32_e32 v105, vcc, v51, v105, vcc
	v_ashrrev_i32_e32 v109, 31, v108
	v_add_co_u32_e32 v106, vcc, v52, v106
	v_lshlrev_b64 v[108:109], 1, v[108:109]
	v_addc_co_u32_e32 v107, vcc, v51, v107, vcc
	v_ashrrev_i32_e32 v111, 31, v110
	v_add_co_u32_e32 v108, vcc, v52, v108
	;; [unrolled: 4-line block ×15, first 2 shown]
	v_lshlrev_b64 v[136:137], 1, v[136:137]
	v_addc_co_u32_e32 v135, vcc, v51, v135, vcc
	v_add_co_u32_e32 v136, vcc, v52, v136
	v_addc_co_u32_e32 v137, vcc, v51, v137, vcc
	.loc	1 36 20                         ; indirect_matmul.py:36:20
	global_load_ushort v67, v[90:91], off
	global_load_ushort v69, v[98:99], off
	;; [unrolled: 1-line block ×4, first 2 shown]
	s_nop 0
	global_load_ushort v90, v[104:105], off
	global_load_ushort v91, v[100:101], off
	;; [unrolled: 1-line block ×3, first 2 shown]
	s_nop 0
	global_load_ushort v92, v[92:93], off
	s_nop 0
	global_load_ushort v93, v[42:43], off
	global_load_ushort v95, v[44:45], off
                                        ; kill: killed $vgpr42 killed $vgpr43
                                        ; kill: killed $vgpr44 killed $vgpr45
	s_nop 0
	global_load_ushort v42, v[88:89], off
	global_load_ushort v43, v[86:87], off
	;; [unrolled: 1-line block ×4, first 2 shown]
                                        ; kill: killed $vgpr88 killed $vgpr89
                                        ; kill: killed $vgpr80 killed $vgpr81
                                        ; kill: killed $vgpr40 killed $vgpr41
                                        ; kill: killed $vgpr86 killed $vgpr87
	s_nop 0
	global_load_ushort v40, v[84:85], off
	global_load_ushort v41, v[82:83], off
	;; [unrolled: 1-line block ×8, first 2 shown]
                                        ; kill: killed $vgpr126 killed $vgpr127
                                        ; kill: killed $vgpr130 killed $vgpr131
                                        ; kill: killed $vgpr82 killed $vgpr83
                                        ; kill: killed $vgpr132 killed $vgpr133
                                        ; kill: killed $vgpr134 killed $vgpr135
                                        ; kill: killed $vgpr84 killed $vgpr85
                                        ; kill: killed $vgpr136 killed $vgpr137
                                        ; kill: killed $vgpr122 killed $vgpr123
	global_load_ushort v82, v[128:129], off
	global_load_ushort v83, v[124:125], off
	;; [unrolled: 1-line block ×10, first 2 shown]
	.loc	1 35 20 is_stmt 1               ; indirect_matmul.py:35:20
	global_load_ushort v102, v[18:19], off
	global_load_ushort v103, v[20:21], off
	;; [unrolled: 1-line block ×5, first 2 shown]
                                        ; kill: killed $vgpr124 killed $vgpr125
                                        ; kill: killed $vgpr106 killed $vgpr107
                                        ; kill: killed $vgpr108 killed $vgpr109
                                        ; kill: killed $vgpr128 killed $vgpr129
                                        ; kill: killed $vgpr110 killed $vgpr111
                                        ; kill: killed $vgpr18 killed $vgpr19
                                        ; kill: killed $vgpr112 killed $vgpr113
                                        ; kill: killed $vgpr20 killed $vgpr21
                                        ; kill: killed $vgpr114 killed $vgpr115
                                        ; kill: killed $vgpr24 killed $vgpr25
                                        ; kill: killed $vgpr116 killed $vgpr117
                                        ; kill: killed $vgpr26 killed $vgpr27
                                        ; kill: killed $vgpr118 killed $vgpr119
                                        ; kill: killed $vgpr28 killed $vgpr29
                                        ; kill: killed $vgpr120 killed $vgpr121
	global_load_ushort v106, v[46:47], off
	global_load_ushort v107, v[30:31], off
	;; [unrolled: 1-line block ×11, first 2 shown]
	.loc	1 38 21                         ; indirect_matmul.py:38:21
	s_waitcnt lgkmcnt(0)
	s_barrier
	s_waitcnt vmcnt(45)
	v_perm_b32 v21, v71, v69, s27
	s_waitcnt vmcnt(44)
	v_perm_b32 v20, v73, v67, s27
	;; [unrolled: 2-line block ×8, first 2 shown]
	ds_write_b128 v61, v[18:21]
	ds_write_b128 v61, v[22:25] offset:1024
	s_waitcnt vmcnt(30)
	v_perm_b32 v28, v81, v80, s27
	s_waitcnt vmcnt(28) lgkmcnt(0)
	v_perm_b32 v29, v87, v86, s27
	s_barrier
	s_waitcnt vmcnt(26)
	v_perm_b32 v33, v88, v89, s27
	ds_read_b128 v[34:37], v63
	ds_read_b128 v[38:41], v63 offset:256
	ds_read_b128 v[42:45], v63 offset:512
	;; [unrolled: 1-line block ×3, first 2 shown]
	s_waitcnt vmcnt(24)
	v_perm_b32 v32, v82, v83, s27
	s_waitcnt lgkmcnt(0)
	s_barrier
	s_waitcnt vmcnt(21)
	v_perm_b32 v27, v96, v85, s27
	s_waitcnt vmcnt(20)
	v_perm_b32 v26, v97, v84, s27
	.loc	1 38 26 is_stmt 0               ; indirect_matmul.py:38:26
	v_perm_b32 v76, v38, v34, s27
	.loc	1 38 21                         ; indirect_matmul.py:38:21
	s_waitcnt vmcnt(18)
	v_perm_b32 v31, v98, v99, s27
	.loc	1 38 26                         ; indirect_matmul.py:38:26
	v_perm_b32 v77, v46, v42, s27
	.loc	1 38 21                         ; indirect_matmul.py:38:21
	s_waitcnt vmcnt(16)
	v_perm_b32 v30, v100, v101, s27
	ds_write_b128 v61, v[26:29]
	ds_write_b128 v61, v[30:33] offset:1024
	s_waitcnt lgkmcnt(0)
	s_barrier
	ds_read_b128 v[18:21], v63
	ds_read_b128 v[22:25], v63 offset:256
	ds_read_b128 v[26:29], v63 offset:512
	;; [unrolled: 1-line block ×3, first 2 shown]
	.loc	1 35 20 is_stmt 1               ; indirect_matmul.py:35:20
	s_waitcnt lgkmcnt(0)
	s_barrier
	s_waitcnt vmcnt(15)
	ds_write_b16 v65, v102
	s_waitcnt vmcnt(14)
	ds_write_b16 v65, v103 offset:1024
	s_waitcnt vmcnt(13)
	ds_write_b16 v65, v104 offset:2048
	s_waitcnt vmcnt(12)
	ds_write_b16 v65, v105 offset:3072
	s_waitcnt vmcnt(11)
	ds_write_b16 v65, v122 offset:4096
	s_waitcnt vmcnt(10)
	ds_write_b16 v65, v106 offset:5120
	s_waitcnt vmcnt(9)
	ds_write_b16 v65, v107 offset:6144
	s_waitcnt vmcnt(8)
	ds_write_b16 v65, v108 offset:7168
	s_waitcnt vmcnt(7)
	ds_write_b16 v65, v109 offset:8192
	s_waitcnt vmcnt(6)
	ds_write_b16 v65, v110 offset:9216
	s_waitcnt vmcnt(5)
	ds_write_b16 v65, v111 offset:10240
	s_waitcnt vmcnt(4)
	ds_write_b16 v65, v112 offset:11264
	s_waitcnt vmcnt(3)
	ds_write_b16 v65, v113 offset:12288
	s_waitcnt vmcnt(2)
	ds_write_b16 v65, v114 offset:13312
	s_waitcnt vmcnt(1)
	ds_write_b16 v65, v115 offset:14336
	s_waitcnt vmcnt(0)
	ds_write_b16 v65, v116 offset:15360
	s_waitcnt lgkmcnt(0)
	s_barrier
	ds_read_u16 v67, v59 offset:256
	ds_read_u16 v69, v59 offset:384
	ds_read_u16 v71, v59
	ds_read_u16 v73, v59 offset:1024
	ds_read_u16 v78, v59 offset:1408
	;; [unrolled: 1-line block ×4, first 2 shown]
	.loc	1 38 26                         ; indirect_matmul.py:38:26
	s_waitcnt lgkmcnt(5)
	v_perm_b32 v75, v69, v67, s27
	.loc	1 35 20                         ; indirect_matmul.py:35:20
	ds_read_u16 v67, v59 offset:1280
	.loc	1 38 26                         ; indirect_matmul.py:38:26
	s_waitcnt lgkmcnt(1)
	v_perm_b32 v74, v74, v71, s27
	s_nop 1
	v_mfma_f32_32x32x8bf16_1k v[2:17], v[74:75], v[76:77], v[2:17]
	s_waitcnt lgkmcnt(0)
	v_perm_b32 v75, v78, v67, s27
	v_perm_b32 v74, v79, v73, s27
	;; [unrolled: 1-line block ×4, first 2 shown]
	.loc	1 35 20                         ; indirect_matmul.py:35:20
	ds_read_u16 v67, v59 offset:2304
	ds_read_u16 v34, v59 offset:2432
	;; [unrolled: 1-line block ×7, first 2 shown]
	.loc	1 38 26                         ; indirect_matmul.py:38:26
	v_mfma_f32_32x32x8bf16_1k v[2:17], v[74:75], v[76:77], v[2:17]
	s_waitcnt lgkmcnt(0)
	v_perm_b32 v74, v71, v38, s27
	.loc	1 35 20                         ; indirect_matmul.py:35:20
	ds_read_u16 v38, v59 offset:4352
	.loc	1 38 26                         ; indirect_matmul.py:38:26
	v_perm_b32 v75, v34, v67, s27
	v_perm_b32 v76, v39, v35, s27
	;; [unrolled: 1-line block ×3, first 2 shown]
	.loc	1 35 20                         ; indirect_matmul.py:35:20
	ds_read_u16 v34, v59 offset:3328
	.loc	1 38 26                         ; indirect_matmul.py:38:26
	s_nop 0
	v_mfma_f32_32x32x8bf16_1k v[2:17], v[74:75], v[76:77], v[2:17]
	s_waitcnt lgkmcnt(0)
	v_perm_b32 v75, v46, v34, s27
	v_perm_b32 v74, v69, v42, s27
	;; [unrolled: 1-line block ×4, first 2 shown]
	s_nop 1
	v_mfma_f32_32x32x8bf16_1k v[2:17], v[74:75], v[34:35], v[2:17]
	.loc	1 35 20                         ; indirect_matmul.py:35:20
	ds_read_u16 v34, v59 offset:4480
	ds_read_u16 v39, v59 offset:4096
	;; [unrolled: 1-line block ×6, first 2 shown]
	.loc	1 38 26                         ; indirect_matmul.py:38:26
	s_waitcnt lgkmcnt(5)
	v_perm_b32 v35, v34, v38, s27
	v_perm_b32 v38, v40, v36, s27
	s_waitcnt lgkmcnt(0)
	v_perm_b32 v34, v47, v39, s27
	v_perm_b32 v39, v48, v44, s27
	s_nop 1
	v_mfma_f32_32x32x8bf16_1k v[2:17], v[34:35], v[38:39], v[2:17]
	.loc	1 35 20                         ; indirect_matmul.py:35:20
	ds_read_u16 v34, v59 offset:5376
	.loc	1 38 26                         ; indirect_matmul.py:38:26
	v_perm_b32 v38, v40, v36, s28
	v_perm_b32 v39, v48, v44, s28
	s_waitcnt lgkmcnt(0)
	v_perm_b32 v35, v43, v34, s27
	v_perm_b32 v34, v46, v42, s27
	.loc	1 35 20                         ; indirect_matmul.py:35:20
	ds_read_u16 v42, v59 offset:6400
	.loc	1 38 26                         ; indirect_matmul.py:38:26
	s_nop 0
	v_mfma_f32_32x32x8bf16_1k v[2:17], v[34:35], v[38:39], v[2:17]
	.loc	1 35 20                         ; indirect_matmul.py:35:20
	ds_read_u16 v34, v59 offset:6528
	ds_read_u16 v36, v59 offset:6144
	;; [unrolled: 1-line block ×6, first 2 shown]
	.loc	1 38 26                         ; indirect_matmul.py:38:26
	s_waitcnt lgkmcnt(5)
	v_perm_b32 v35, v34, v42, s27
	v_perm_b32 v39, v49, v45, s27
	s_waitcnt lgkmcnt(0)
	v_perm_b32 v34, v38, v36, s27
	v_perm_b32 v38, v41, v37, s27
	;; [unrolled: 1-line block ×4, first 2 shown]
	v_mfma_f32_32x32x8bf16_1k v[2:17], v[34:35], v[38:39], v[2:17]
	.loc	1 35 20                         ; indirect_matmul.py:35:20
	ds_read_u16 v34, v59 offset:7424
	ds_read_u16 v38, v59 offset:8448
	.loc	1 38 26                         ; indirect_matmul.py:38:26
	s_waitcnt lgkmcnt(1)
	v_perm_b32 v35, v43, v34, s27
	v_perm_b32 v34, v44, v40, s27
	s_nop 1
	v_mfma_f32_32x32x8bf16_1k v[2:17], v[34:35], v[36:37], v[2:17]
	.loc	1 35 20                         ; indirect_matmul.py:35:20
	ds_read_u16 v34, v59 offset:8576
	ds_read_u16 v36, v59 offset:8192
	;; [unrolled: 1-line block ×6, first 2 shown]
	.loc	1 38 26                         ; indirect_matmul.py:38:26
	s_waitcnt lgkmcnt(5)
	v_perm_b32 v35, v34, v38, s27
	.loc	1 35 20                         ; indirect_matmul.py:35:20
	ds_read_u16 v38, v59 offset:10496
	.loc	1 38 26                         ; indirect_matmul.py:38:26
	s_waitcnt lgkmcnt(1)
	v_perm_b32 v34, v37, v36, s27
	v_perm_b32 v36, v22, v18, s27
	v_perm_b32 v37, v30, v26, s27
	s_nop 1
	v_mfma_f32_32x32x8bf16_1k v[2:17], v[34:35], v[36:37], v[2:17]
	.loc	1 35 20                         ; indirect_matmul.py:35:20
	ds_read_u16 v34, v59 offset:9472
	.loc	1 38 26                         ; indirect_matmul.py:38:26
	v_perm_b32 v36, v22, v18, s28
	v_perm_b32 v37, v30, v26, s28
	s_waitcnt lgkmcnt(0)
	v_perm_b32 v35, v40, v34, s27
	v_perm_b32 v34, v41, v39, s27
	s_nop 1
	v_mfma_f32_32x32x8bf16_1k v[2:17], v[34:35], v[36:37], v[2:17]
	.loc	1 35 20                         ; indirect_matmul.py:35:20
	ds_read_u16 v18, v59 offset:10624
	ds_read_u16 v22, v59 offset:10240
	;; [unrolled: 1-line block ×6, first 2 shown]
	.loc	1 38 26                         ; indirect_matmul.py:38:26
	s_waitcnt lgkmcnt(5)
	v_perm_b32 v35, v18, v38, s27
	v_perm_b32 v36, v23, v19, s27
	;; [unrolled: 1-line block ×3, first 2 shown]
	.loc	1 35 20                         ; indirect_matmul.py:35:20
	ds_read_u16 v18, v59 offset:11520
	.loc	1 38 26                         ; indirect_matmul.py:38:26
	s_waitcnt lgkmcnt(1)
	v_perm_b32 v34, v34, v22, s27
	.loc	1 35 20                         ; indirect_matmul.py:35:20
	ds_read_u16 v22, v59 offset:12544
	.loc	1 38 26                         ; indirect_matmul.py:38:26
	s_nop 0
	v_mfma_f32_32x32x8bf16_1k v[2:17], v[34:35], v[36:37], v[2:17]
	s_waitcnt lgkmcnt(1)
	v_perm_b32 v35, v30, v18, s27
	v_perm_b32 v34, v39, v26, s27
	;; [unrolled: 1-line block ×4, first 2 shown]
	s_nop 1
	v_mfma_f32_32x32x8bf16_1k v[2:17], v[34:35], v[18:19], v[2:17]
	.loc	1 35 20                         ; indirect_matmul.py:35:20
	ds_read_u16 v18, v59 offset:12672
	ds_read_u16 v23, v59 offset:12288
	;; [unrolled: 1-line block ×6, first 2 shown]
	.loc	1 38 26                         ; indirect_matmul.py:38:26
	s_waitcnt lgkmcnt(5)
	v_perm_b32 v19, v18, v22, s27
	v_perm_b32 v22, v24, v20, s27
	s_waitcnt lgkmcnt(0)
	v_perm_b32 v18, v31, v23, s27
	v_perm_b32 v23, v32, v28, s27
	s_nop 1
	v_mfma_f32_32x32x8bf16_1k v[2:17], v[18:19], v[22:23], v[2:17]
	.loc	1 35 20                         ; indirect_matmul.py:35:20
	ds_read_u16 v18, v59 offset:13568
	.loc	1 38 26                         ; indirect_matmul.py:38:26
	v_perm_b32 v22, v24, v20, s28
	v_perm_b32 v23, v32, v28, s28
	s_waitcnt lgkmcnt(0)
	v_perm_b32 v19, v27, v18, s27
	v_perm_b32 v18, v30, v26, s27
	.loc	1 35 20                         ; indirect_matmul.py:35:20
	ds_read_u16 v26, v59 offset:14592
	.loc	1 38 26                         ; indirect_matmul.py:38:26
	s_nop 0
	v_mfma_f32_32x32x8bf16_1k v[2:17], v[18:19], v[22:23], v[2:17]
	.loc	1 35 20                         ; indirect_matmul.py:35:20
	ds_read_u16 v18, v59 offset:14720
	ds_read_u16 v20, v59 offset:14336
	;; [unrolled: 1-line block ×6, first 2 shown]
	.loc	1 38 26                         ; indirect_matmul.py:38:26
	s_waitcnt lgkmcnt(5)
	v_perm_b32 v19, v18, v26, s27
	v_perm_b32 v23, v33, v29, s27
	s_waitcnt lgkmcnt(0)
	v_perm_b32 v18, v22, v20, s27
	v_perm_b32 v22, v25, v21, s27
	;; [unrolled: 1-line block ×4, first 2 shown]
	v_mfma_f32_32x32x8bf16_1k v[2:17], v[18:19], v[22:23], v[2:17]
	.loc	1 35 20                         ; indirect_matmul.py:35:20
	ds_read_u16 v18, v59 offset:15616
	.loc	1 38 26                         ; indirect_matmul.py:38:26
	s_waitcnt lgkmcnt(0)
	v_perm_b32 v19, v27, v18, s27
	v_perm_b32 v18, v28, v24, s27
	s_nop 1
	v_mfma_f32_32x32x8bf16_1k v[2:17], v[18:19], v[20:21], v[2:17]
	.loc	1 32 25                         ; indirect_matmul.py:32:25
	s_cbranch_scc1 .LBB0_2
	s_branch .LBB0_4
.LBB0_3:
	.loc	1 0 25 is_stmt 0                ; indirect_matmul.py:0:25
	v_mov_b32_e32 v17, 0
	v_mov_b32_e32 v16, v17
	;; [unrolled: 1-line block ×16, first 2 shown]
.LBB0_4:                                ; %._crit_edge
	.loc	1 42 28 is_stmt 1               ; indirect_matmul.py:42:28
	v_lshrrev_b32_e32 v33, 2, v53
	.loc	1 26 35                         ; indirect_matmul.py:26:35
	v_lshrrev_b32_e32 v1, 3, v55
	v_lshrrev_b32_e32 v18, 1, v57
	.loc	1 42 28                         ; indirect_matmul.py:42:28
	v_and_or_b32 v0, v0, 31, v33
	.loc	1 26 35                         ; indirect_matmul.py:26:35
	v_or_b32_e32 v1, v1, v18
	.loc	1 42 21                         ; indirect_matmul.py:42:21
	v_lshlrev_b32_e32 v0, 2, v0
	v_add_co_u32_e32 v48, vcc, s6, v0
	.loc	1 42 48 is_stmt 0               ; indirect_matmul.py:42:48
	v_mul_lo_u32 v0, v1, s8
	.loc	1 26 35 is_stmt 1               ; indirect_matmul.py:26:35
	v_or_b32_e32 v19, 27, v1
	v_or_b32_e32 v21, 26, v1
	;; [unrolled: 1-line block ×15, first 2 shown]
	.loc	1 42 21                         ; indirect_matmul.py:42:21
	v_mov_b32_e32 v33, s7
	.loc	1 42 39 is_stmt 0               ; indirect_matmul.py:42:39
	v_ashrrev_i32_e32 v1, 31, v0
	.loc	1 42 21                         ; indirect_matmul.py:42:21
	v_addc_co_u32_e32 v49, vcc, 0, v33, vcc
	.loc	1 42 48                         ; indirect_matmul.py:42:48
	v_mul_lo_u32 v18, v18, s8
	.loc	1 42 39                         ; indirect_matmul.py:42:39
	v_lshlrev_b64 v[0:1], 2, v[0:1]
	.loc	1 42 48                         ; indirect_matmul.py:42:48
	v_mul_lo_u32 v46, v19, s8
	.loc	1 42 39                         ; indirect_matmul.py:42:39
	v_add_co_u32_e32 v0, vcc, v48, v0
	v_ashrrev_i32_e32 v19, 31, v18
	.loc	1 42 48                         ; indirect_matmul.py:42:48
	v_mul_lo_u32 v20, v20, s8
	.loc	1 42 39                         ; indirect_matmul.py:42:39
	v_addc_co_u32_e32 v1, vcc, v49, v1, vcc
	v_lshlrev_b64 v[18:19], 2, v[18:19]
	.loc	1 42 48                         ; indirect_matmul.py:42:48
	v_mul_lo_u32 v44, v21, s8
	.loc	1 42 39                         ; indirect_matmul.py:42:39
	v_add_co_u32_e32 v18, vcc, v48, v18
	v_ashrrev_i32_e32 v21, 31, v20
	.loc	1 42 48                         ; indirect_matmul.py:42:48
	v_mul_lo_u32 v22, v22, s8
	.loc	1 42 39                         ; indirect_matmul.py:42:39
	v_addc_co_u32_e32 v19, vcc, v49, v19, vcc
	;; [unrolled: 10-line block ×7, first 2 shown]
	v_lshlrev_b64 v[30:31], 2, v[30:31]
	v_add_co_u32_e32 v30, vcc, v48, v30
	v_ashrrev_i32_e32 v33, 31, v32
	v_addc_co_u32_e32 v31, vcc, v49, v31, vcc
	v_lshlrev_b64 v[32:33], 2, v[32:33]
	v_add_co_u32_e32 v32, vcc, v48, v32
	v_ashrrev_i32_e32 v35, 31, v34
	v_addc_co_u32_e32 v33, vcc, v49, v33, vcc
	;; [unrolled: 4-line block ×8, first 2 shown]
	v_lshlrev_b64 v[46:47], 2, v[46:47]
	v_add_co_u32_e32 v46, vcc, v48, v46
	v_addc_co_u32_e32 v47, vcc, v49, v47, vcc
	.loc	1 43 23 is_stmt 1               ; indirect_matmul.py:43:23
	global_store_dword v[0:1], v2, off
	global_store_dword v[18:19], v3, off
	global_store_dword v[20:21], v4, off
	global_store_dword v[22:23], v5, off
	global_store_dword v[24:25], v6, off
	global_store_dword v[26:27], v7, off
	global_store_dword v[28:29], v8, off
	global_store_dword v[30:31], v9, off
	global_store_dword v[32:33], v10, off
	global_store_dword v[34:35], v11, off
	global_store_dword v[36:37], v12, off
	global_store_dword v[38:39], v13, off
	global_store_dword v[40:41], v14, off
	global_store_dword v[42:43], v15, off
	global_store_dword v[44:45], v16, off
	global_store_dword v[46:47], v17, off
	.loc	1 43 4 is_stmt 0                ; indirect_matmul.py:43:4
	s_endpgm
.Ltmp2:
	.section	.rodata,"a",@progbits
	.p2align	6, 0x0
	.amdhsa_kernel indirect_matmul_kernel
		.amdhsa_group_segment_fixed_size 0
		.amdhsa_private_segment_fixed_size 0
		.amdhsa_kernarg_size 80
		.amdhsa_user_sgpr_count 16
		.amdhsa_user_sgpr_private_segment_buffer 1
		.amdhsa_user_sgpr_dispatch_ptr 0
		.amdhsa_user_sgpr_queue_ptr 0
		.amdhsa_user_sgpr_kernarg_segment_ptr 1
		.amdhsa_user_sgpr_dispatch_id 0
		.amdhsa_user_sgpr_flat_scratch_init 0
		.amdhsa_user_sgpr_kernarg_preload_length 10
		.amdhsa_user_sgpr_kernarg_preload_offset 0
		.amdhsa_user_sgpr_private_segment_size 0
		.amdhsa_uses_dynamic_stack 0
		.amdhsa_system_sgpr_private_segment_wavefront_offset 0
		.amdhsa_system_sgpr_workgroup_id_x 1
		.amdhsa_system_sgpr_workgroup_id_y 0
		.amdhsa_system_sgpr_workgroup_id_z 0
		.amdhsa_system_sgpr_workgroup_info 0
		.amdhsa_system_vgpr_workitem_id 0
		.amdhsa_next_free_vgpr 138
		.amdhsa_next_free_sgpr 29
		.amdhsa_accum_offset 140
		.amdhsa_reserve_vcc 1
		.amdhsa_reserve_flat_scratch 0
		.amdhsa_reserve_xnack_mask 1
		.amdhsa_float_round_mode_32 0
		.amdhsa_float_round_mode_16_64 0
		.amdhsa_float_denorm_mode_32 3
		.amdhsa_float_denorm_mode_16_64 3
		.amdhsa_dx10_clamp 1
		.amdhsa_ieee_mode 1
		.amdhsa_fp16_overflow 0
		.amdhsa_tg_split 0
		.amdhsa_exception_fp_ieee_invalid_op 0
		.amdhsa_exception_fp_denorm_src 0
		.amdhsa_exception_fp_ieee_div_zero 0
		.amdhsa_exception_fp_ieee_overflow 0
		.amdhsa_exception_fp_ieee_underflow 0
		.amdhsa_exception_fp_ieee_inexact 0
		.amdhsa_exception_int_div_zero 0
	.end_amdhsa_kernel
	.text
.Lfunc_end0:
	.size	indirect_matmul_kernel, .Lfunc_end0-indirect_matmul_kernel
	.cfi_endproc
                                        ; -- End function
	.set indirect_matmul_kernel.num_vgpr, 138
	.set indirect_matmul_kernel.num_agpr, 0
	.set indirect_matmul_kernel.numbered_sgpr, 29
	.set indirect_matmul_kernel.num_named_barrier, 0
	.set indirect_matmul_kernel.private_seg_size, 0
	.set indirect_matmul_kernel.uses_vcc, 1
	.set indirect_matmul_kernel.uses_flat_scratch, 0
	.set indirect_matmul_kernel.has_dyn_sized_stack, 0
	.set indirect_matmul_kernel.has_recursion, 0
	.set indirect_matmul_kernel.has_indirect_call, 0
	.section	.AMDGPU.csdata,"",@progbits
; Kernel info:
; codeLenInByte = 5620
; TotalNumSgprs: 33
; NumVgprs: 138
; NumAgprs: 0
; TotalNumVgprs: 138
; ScratchSize: 0
; MemoryBound: 0
; FloatMode: 240
; IeeeMode: 1
; LDSByteSize: 0 bytes/workgroup (compile time only)
; SGPRBlocks: 4
; VGPRBlocks: 17
; NumSGPRsForWavesPerEU: 33
; NumVGPRsForWavesPerEU: 138
; AccumOffset: 140
; Occupancy: 3
; WaveLimiterHint : 1
; COMPUTE_PGM_RSRC2:SCRATCH_EN: 0
; COMPUTE_PGM_RSRC2:USER_SGPR: 16
; COMPUTE_PGM_RSRC2:TRAP_HANDLER: 0
; COMPUTE_PGM_RSRC2:TGID_X_EN: 1
; COMPUTE_PGM_RSRC2:TGID_Y_EN: 0
; COMPUTE_PGM_RSRC2:TGID_Z_EN: 0
; COMPUTE_PGM_RSRC2:TIDIG_COMP_CNT: 0
; COMPUTE_PGM_RSRC3_GFX90A:ACCUM_OFFSET: 34
; COMPUTE_PGM_RSRC3_GFX90A:TG_SPLIT: 0
	.text
	.p2alignl 6, 3212836864
	.fill 256, 4, 3212836864
	.section	.AMDGPU.gpr_maximums,"",@progbits
	.set amdgpu.max_num_vgpr, 0
	.set amdgpu.max_num_agpr, 0
	.set amdgpu.max_num_sgpr, 0
	.set amdgpu.max_num_named_barrier, 0
	.text
	.section	.debug_abbrev,"",@progbits
	.byte	1                               ; Abbreviation Code
	.byte	17                              ; DW_TAG_compile_unit
	.byte	0                               ; DW_CHILDREN_no
	.byte	37                              ; DW_AT_producer
	.byte	14                              ; DW_FORM_strp
	.byte	19                              ; DW_AT_language
	.byte	5                               ; DW_FORM_data2
	.byte	3                               ; DW_AT_name
	.byte	14                              ; DW_FORM_strp
	.byte	16                              ; DW_AT_stmt_list
	.byte	23                              ; DW_FORM_sec_offset
	.byte	27                              ; DW_AT_comp_dir
	.byte	14                              ; DW_FORM_strp
	.byte	17                              ; DW_AT_low_pc
	.byte	1                               ; DW_FORM_addr
	.byte	18                              ; DW_AT_high_pc
	.byte	6                               ; DW_FORM_data4
	.byte	0                               ; EOM(1)
	.byte	0                               ; EOM(2)
	;; [unrolled: 1-line block ×3, first 2 shown]
	.section	.debug_info,"",@progbits
.Lcu_begin0:
	.long	.Ldebug_info_end0-.Ldebug_info_start0 ; Length of Unit
.Ldebug_info_start0:
	.short	4                               ; DWARF version number
	.long	.debug_abbrev                   ; Offset Into Abbrev. Section
	.byte	8                               ; Address Size (in bytes)
	.byte	1                               ; Abbrev [1] 0xb:0x1f DW_TAG_compile_unit
	.long	.Linfo_string0                  ; DW_AT_producer
	.short	2                               ; DW_AT_language
	.long	.Linfo_string1                  ; DW_AT_name
	.long	.Lline_table_start0             ; DW_AT_stmt_list
	.long	.Linfo_string2                  ; DW_AT_comp_dir
	.quad	.Lfunc_begin0                   ; DW_AT_low_pc
	.long	.Lfunc_end0-.Lfunc_begin0       ; DW_AT_high_pc
.Ldebug_info_end0:
	.section	.debug_str,"MS",@progbits,1
.Linfo_string0:
	.asciz	"triton"                        ; string offset=0
.Linfo_string1:
	.asciz	"indirect_matmul.py"            ; string offset=7
.Linfo_string2:
	.asciz	"/root/src/amdgpu-assembly/repos/triton-lang__triton-aot" ; string offset=26
	.section	".note.GNU-stack","",@progbits
	.amdgpu_metadata
---
amdhsa.kernels:
  - .agpr_count:     0
    .args:
      - .address_space:  global
        .offset:         0
        .size:           8
        .value_kind:     global_buffer
      - .offset:         8
        .size:           4
        .value_kind:     by_value
      - .address_space:  global
        .offset:         16
        .size:           8
        .value_kind:     global_buffer
      - .offset:         24
        .size:           4
        .value_kind:     by_value
      - .address_space:  global
        .offset:         32
        .size:           8
        .value_kind:     global_buffer
      - .offset:         40
        .size:           4
        .value_kind:     by_value
      - .address_space:  global
        .offset:         48
        .size:           8
        .value_kind:     global_buffer
      - .offset:         56
        .size:           4
        .value_kind:     by_value
      - .address_space:  global
        .offset:         64
        .size:           8
        .value_kind:     global_buffer
      - .address_space:  global
        .offset:         72
        .size:           8
        .value_kind:     global_buffer
    .group_segment_fixed_size: 0
    .kernarg_segment_align: 8
    .kernarg_segment_size: 80
    .max_flat_workgroup_size: 512
    .name:           indirect_matmul_kernel
    .private_segment_fixed_size: 0
    .sgpr_count:     33
    .sgpr_spill_count: 0
    .symbol:         indirect_matmul_kernel.kd
    .uniform_work_group_size: 1
    .uses_dynamic_stack: false
    .vgpr_count:     138
    .vgpr_spill_count: 0
    .wavefront_size: 64
amdhsa.target:   amdgcn-amd-amdhsa--gfx90a
amdhsa.version:
  - 1
  - 2
...

	.end_amdgpu_metadata
	.section	.debug_line,"",@progbits
.Lline_table_start0:
